;; amdgpu-corpus repo=ROCm/rocFFT kind=compiled arch=gfx950 opt=O3
	.text
	.amdgcn_target "amdgcn-amd-amdhsa--gfx950"
	.amdhsa_code_object_version 6
	.protected	fft_rtc_back_len200_factors_5_8_5_wgs_400_tpt_40_dp_ip_CI_sbcc_dirReg_intrinsicRead ; -- Begin function fft_rtc_back_len200_factors_5_8_5_wgs_400_tpt_40_dp_ip_CI_sbcc_dirReg_intrinsicRead
	.globl	fft_rtc_back_len200_factors_5_8_5_wgs_400_tpt_40_dp_ip_CI_sbcc_dirReg_intrinsicRead
	.p2align	8
	.type	fft_rtc_back_len200_factors_5_8_5_wgs_400_tpt_40_dp_ip_CI_sbcc_dirReg_intrinsicRead,@function
fft_rtc_back_len200_factors_5_8_5_wgs_400_tpt_40_dp_ip_CI_sbcc_dirReg_intrinsicRead: ; @fft_rtc_back_len200_factors_5_8_5_wgs_400_tpt_40_dp_ip_CI_sbcc_dirReg_intrinsicRead
; %bb.0:
	s_load_dwordx4 s[8:11], s[0:1], 0x18
	s_mov_b32 s3, 0
	s_mov_b64 s[24:25], 0
	s_waitcnt lgkmcnt(0)
	s_load_dwordx2 s[16:17], s[8:9], 0x8
	s_waitcnt lgkmcnt(0)
	s_add_u32 s4, s16, -1
	s_addc_u32 s5, s17, -1
	s_add_u32 s6, 0, 0x99986000
	s_addc_u32 s7, 0, 0x59
	s_mul_hi_u32 s13, s6, -10
	s_add_i32 s7, s7, 0x19999940
	s_sub_i32 s13, s13, s6
	s_mul_i32 s18, s7, -10
	s_mul_i32 s12, s6, -10
	s_add_i32 s13, s13, s18
	s_mul_hi_u32 s14, s7, s12
	s_mul_i32 s15, s7, s12
	s_mul_i32 s19, s6, s13
	s_mul_hi_u32 s12, s6, s12
	s_mul_hi_u32 s18, s6, s13
	s_add_u32 s12, s12, s19
	s_addc_u32 s18, 0, s18
	s_add_u32 s12, s12, s15
	s_mul_hi_u32 s19, s7, s13
	s_addc_u32 s12, s18, s14
	s_addc_u32 s14, s19, 0
	s_mul_i32 s13, s7, s13
	s_add_u32 s12, s12, s13
	v_mov_b32_e32 v1, s12
	s_addc_u32 s13, 0, s14
	v_add_co_u32_e32 v1, vcc, s6, v1
	s_cmp_lg_u64 vcc, 0
	s_addc_u32 s6, s7, s13
	v_readfirstlane_b32 s13, v1
	s_mul_i32 s12, s4, s6
	s_mul_hi_u32 s14, s4, s13
	s_mul_hi_u32 s7, s4, s6
	s_add_u32 s12, s14, s12
	s_addc_u32 s7, 0, s7
	s_mul_hi_u32 s15, s5, s13
	s_mul_i32 s13, s5, s13
	s_add_u32 s12, s12, s13
	s_mul_hi_u32 s14, s5, s6
	s_addc_u32 s7, s7, s15
	s_addc_u32 s12, s14, 0
	s_mul_i32 s6, s5, s6
	s_add_u32 s6, s7, s6
	s_addc_u32 s7, 0, s12
	s_add_u32 s12, s6, 1
	s_addc_u32 s13, s7, 0
	s_add_u32 s14, s6, 2
	s_mul_i32 s18, s7, 10
	s_mul_hi_u32 s19, s6, 10
	s_addc_u32 s15, s7, 0
	s_add_i32 s19, s19, s18
	s_mul_i32 s18, s6, 10
	v_mov_b32_e32 v1, s18
	v_sub_co_u32_e32 v1, vcc, s4, v1
	s_cmp_lg_u64 vcc, 0
	s_subb_u32 s4, s5, s19
	v_subrev_co_u32_e32 v2, vcc, 10, v1
	s_cmp_lg_u64 vcc, 0
	s_subb_u32 s5, s4, 0
	v_readfirstlane_b32 s18, v2
	s_cmp_gt_u32 s18, 9
	s_cselect_b32 s18, -1, 0
	s_cmp_eq_u32 s5, 0
	s_cselect_b32 s5, s18, -1
	s_cmp_lg_u32 s5, 0
	s_cselect_b32 s5, s14, s12
	s_cselect_b32 s12, s15, s13
	v_readfirstlane_b32 s13, v1
	s_cmp_gt_u32 s13, 9
	s_cselect_b32 s13, -1, 0
	s_cmp_eq_u32 s4, 0
	s_cselect_b32 s4, s13, -1
	s_cmp_lg_u32 s4, 0
	s_cselect_b32 s5, s5, s6
	s_cselect_b32 s4, s12, s7
	s_add_u32 s18, s5, 1
	s_addc_u32 s19, s4, 0
	v_mov_b64_e32 v[2:3], s[18:19]
	v_cmp_lt_u64_e32 vcc, s[2:3], v[2:3]
	s_cbranch_vccnz .LBB0_2
; %bb.1:
	v_cvt_f32_u32_e32 v1, s18
	s_sub_i32 s4, 0, s18
	s_mov_b32 s25, s3
	v_rcp_iflag_f32_e32 v1, v1
	s_nop 0
	v_mul_f32_e32 v1, 0x4f7ffffe, v1
	v_cvt_u32_f32_e32 v1, v1
	s_nop 0
	v_readfirstlane_b32 s5, v1
	s_mul_i32 s4, s4, s5
	s_mul_hi_u32 s4, s5, s4
	s_add_i32 s5, s5, s4
	s_mul_hi_u32 s4, s2, s5
	s_mul_i32 s6, s4, s18
	s_sub_i32 s6, s2, s6
	s_add_i32 s5, s4, 1
	s_sub_i32 s7, s6, s18
	s_cmp_ge_u32 s6, s18
	s_cselect_b32 s4, s5, s4
	s_cselect_b32 s6, s7, s6
	s_add_i32 s5, s4, 1
	s_cmp_ge_u32 s6, s18
	s_cselect_b32 s24, s5, s4
.LBB0_2:
	s_load_dwordx2 s[14:15], s[0:1], 0x0
	s_load_dwordx4 s[4:7], s[10:11], 0x0
	s_load_dwordx2 s[12:13], s[0:1], 0x58
	s_load_dwordx2 s[22:23], s[0:1], 0x10
	s_mul_i32 s0, s24, s19
	s_mul_hi_u32 s1, s24, s18
	s_add_i32 s1, s1, s0
	s_mul_i32 s0, s24, s18
	s_sub_u32 s0, s2, s0
	s_subb_u32 s1, 0, s1
	s_mul_i32 s1, s1, 10
	s_mul_hi_u32 s20, s0, 10
	s_add_i32 s21, s20, s1
	s_mul_i32 s20, s0, 10
	s_waitcnt lgkmcnt(0)
	s_mul_i32 s0, s6, s21
	s_mul_hi_u32 s1, s6, s20
	s_add_i32 s0, s1, s0
	s_mul_i32 s1, s7, s20
	s_add_i32 s33, s0, s1
	v_cmp_lt_u64_e64 s[0:1], s[22:23], 3
	s_mul_i32 s38, s6, s20
	s_and_b64 vcc, exec, s[0:1]
	s_cbranch_vccnz .LBB0_12
; %bb.3:
	s_add_u32 s26, s10, 16
	s_addc_u32 s27, s11, 0
	s_add_u32 s8, s8, 16
	s_addc_u32 s9, s9, 0
	s_mov_b64 s[28:29], 2
	s_mov_b32 s30, 0
	v_mov_b64_e32 v[2:3], s[22:23]
.LBB0_4:                                ; =>This Inner Loop Header: Depth=1
	s_load_dwordx2 s[34:35], s[8:9], 0x0
	s_waitcnt lgkmcnt(0)
	s_or_b64 s[0:1], s[24:25], s[34:35]
	s_mov_b32 s31, s1
	s_cmp_lg_u64 s[30:31], 0
	s_cbranch_scc0 .LBB0_9
; %bb.5:                                ;   in Loop: Header=BB0_4 Depth=1
	v_cvt_f32_u32_e32 v1, s34
	v_cvt_f32_u32_e32 v4, s35
	s_sub_u32 s0, 0, s34
	s_subb_u32 s1, 0, s35
	v_fmac_f32_e32 v1, 0x4f800000, v4
	v_rcp_f32_e32 v1, v1
	s_nop 0
	v_mul_f32_e32 v1, 0x5f7ffffc, v1
	v_mul_f32_e32 v4, 0x2f800000, v1
	v_trunc_f32_e32 v4, v4
	v_fmac_f32_e32 v1, 0xcf800000, v4
	v_cvt_u32_f32_e32 v4, v4
	v_cvt_u32_f32_e32 v1, v1
	v_readfirstlane_b32 s31, v4
	v_readfirstlane_b32 s36, v1
	s_mul_i32 s37, s0, s31
	s_mul_hi_u32 s40, s0, s36
	s_mul_i32 s39, s1, s36
	s_add_i32 s37, s40, s37
	s_mul_i32 s41, s0, s36
	s_add_i32 s37, s37, s39
	s_mul_hi_u32 s39, s36, s37
	s_mul_i32 s40, s36, s37
	s_mul_hi_u32 s36, s36, s41
	s_add_u32 s36, s36, s40
	s_addc_u32 s39, 0, s39
	s_mul_hi_u32 s42, s31, s41
	s_mul_i32 s41, s31, s41
	s_add_u32 s36, s36, s41
	s_mul_hi_u32 s40, s31, s37
	s_addc_u32 s36, s39, s42
	s_addc_u32 s39, s40, 0
	s_mul_i32 s37, s31, s37
	s_add_u32 s36, s36, s37
	s_addc_u32 s37, 0, s39
	v_add_co_u32_e32 v1, vcc, s36, v1
	s_cmp_lg_u64 vcc, 0
	s_addc_u32 s31, s31, s37
	v_readfirstlane_b32 s37, v1
	s_mul_i32 s36, s0, s31
	s_mul_hi_u32 s39, s0, s37
	s_add_i32 s36, s39, s36
	s_mul_i32 s1, s1, s37
	s_add_i32 s36, s36, s1
	s_mul_i32 s0, s0, s37
	s_mul_hi_u32 s39, s31, s0
	s_mul_i32 s40, s31, s0
	s_mul_i32 s42, s37, s36
	s_mul_hi_u32 s0, s37, s0
	s_mul_hi_u32 s41, s37, s36
	s_add_u32 s0, s0, s42
	s_addc_u32 s37, 0, s41
	s_add_u32 s0, s0, s40
	s_mul_hi_u32 s1, s31, s36
	s_addc_u32 s0, s37, s39
	s_addc_u32 s1, s1, 0
	s_mul_i32 s36, s31, s36
	s_add_u32 s0, s0, s36
	s_addc_u32 s1, 0, s1
	v_add_co_u32_e32 v1, vcc, s0, v1
	s_cmp_lg_u64 vcc, 0
	s_addc_u32 s0, s31, s1
	v_readfirstlane_b32 s36, v1
	s_mul_i32 s31, s24, s0
	s_mul_hi_u32 s37, s24, s36
	s_mul_hi_u32 s1, s24, s0
	s_add_u32 s31, s37, s31
	s_addc_u32 s1, 0, s1
	s_mul_hi_u32 s39, s25, s36
	s_mul_i32 s36, s25, s36
	s_add_u32 s31, s31, s36
	s_mul_hi_u32 s37, s25, s0
	s_addc_u32 s1, s1, s39
	s_addc_u32 s31, s37, 0
	s_mul_i32 s0, s25, s0
	s_add_u32 s36, s1, s0
	s_addc_u32 s31, 0, s31
	s_mul_i32 s0, s34, s31
	s_mul_hi_u32 s1, s34, s36
	s_add_i32 s0, s1, s0
	s_mul_i32 s1, s35, s36
	s_add_i32 s37, s0, s1
	s_mul_i32 s1, s34, s36
	v_mov_b32_e32 v1, s1
	s_sub_i32 s0, s25, s37
	v_sub_co_u32_e32 v1, vcc, s24, v1
	s_cmp_lg_u64 vcc, 0
	s_subb_u32 s39, s0, s35
	v_subrev_co_u32_e64 v4, s[0:1], s34, v1
	s_cmp_lg_u64 s[0:1], 0
	s_subb_u32 s0, s39, 0
	s_cmp_ge_u32 s0, s35
	v_readfirstlane_b32 s39, v4
	s_cselect_b32 s1, -1, 0
	s_cmp_ge_u32 s39, s34
	s_cselect_b32 s39, -1, 0
	s_cmp_eq_u32 s0, s35
	s_cselect_b32 s0, s39, s1
	s_add_u32 s1, s36, 1
	s_addc_u32 s39, s31, 0
	s_add_u32 s40, s36, 2
	s_addc_u32 s41, s31, 0
	s_cmp_lg_u32 s0, 0
	s_cselect_b32 s0, s40, s1
	s_cselect_b32 s1, s41, s39
	s_cmp_lg_u64 vcc, 0
	s_subb_u32 s37, s25, s37
	s_cmp_ge_u32 s37, s35
	v_readfirstlane_b32 s40, v1
	s_cselect_b32 s39, -1, 0
	s_cmp_ge_u32 s40, s34
	s_cselect_b32 s40, -1, 0
	s_cmp_eq_u32 s37, s35
	s_cselect_b32 s37, s40, s39
	s_cmp_lg_u32 s37, 0
	s_cselect_b32 s1, s1, s31
	s_cselect_b32 s0, s0, s36
	s_cbranch_execnz .LBB0_7
.LBB0_6:                                ;   in Loop: Header=BB0_4 Depth=1
	v_cvt_f32_u32_e32 v1, s34
	s_sub_i32 s0, 0, s34
	v_rcp_iflag_f32_e32 v1, v1
	s_nop 0
	v_mul_f32_e32 v1, 0x4f7ffffe, v1
	v_cvt_u32_f32_e32 v1, v1
	s_nop 0
	v_readfirstlane_b32 s1, v1
	s_mul_i32 s0, s0, s1
	s_mul_hi_u32 s0, s1, s0
	s_add_i32 s1, s1, s0
	s_mul_hi_u32 s0, s24, s1
	s_mul_i32 s31, s0, s34
	s_sub_i32 s31, s24, s31
	s_add_i32 s1, s0, 1
	s_sub_i32 s36, s31, s34
	s_cmp_ge_u32 s31, s34
	s_cselect_b32 s0, s1, s0
	s_cselect_b32 s31, s36, s31
	s_add_i32 s1, s0, 1
	s_cmp_ge_u32 s31, s34
	s_cselect_b32 s0, s1, s0
	s_mov_b32 s1, s30
.LBB0_7:                                ;   in Loop: Header=BB0_4 Depth=1
	s_mul_i32 s19, s34, s19
	s_mul_hi_u32 s31, s34, s18
	s_add_i32 s19, s31, s19
	s_mul_i32 s31, s35, s18
	s_add_i32 s19, s19, s31
	s_mul_i32 s31, s0, s35
	s_mul_hi_u32 s35, s0, s34
	s_load_dwordx2 s[36:37], s[26:27], 0x0
	s_add_i32 s31, s35, s31
	s_mul_i32 s35, s1, s34
	s_mul_i32 s18, s34, s18
	s_add_i32 s31, s31, s35
	s_mul_i32 s34, s0, s34
	s_sub_u32 s24, s24, s34
	s_subb_u32 s25, s25, s31
	s_waitcnt lgkmcnt(0)
	s_mul_i32 s25, s36, s25
	s_mul_hi_u32 s31, s36, s24
	s_add_i32 s25, s31, s25
	s_mul_i32 s31, s37, s24
	s_add_i32 s25, s25, s31
	s_mul_i32 s24, s36, s24
	s_add_u32 s38, s24, s38
	s_addc_u32 s33, s25, s33
	s_add_u32 s28, s28, 1
	s_addc_u32 s29, s29, 0
	;; [unrolled: 2-line block ×3, first 2 shown]
	s_add_u32 s8, s8, 8
	v_cmp_ge_u64_e32 vcc, s[28:29], v[2:3]
	s_addc_u32 s9, s9, 0
	s_cbranch_vccnz .LBB0_10
; %bb.8:                                ;   in Loop: Header=BB0_4 Depth=1
	s_mov_b64 s[24:25], s[0:1]
	s_branch .LBB0_4
.LBB0_9:                                ;   in Loop: Header=BB0_4 Depth=1
                                        ; implicit-def: $sgpr0_sgpr1
	s_branch .LBB0_6
.LBB0_10:
	v_mov_b64_e32 v[2:3], s[18:19]
	v_cmp_lt_u64_e32 vcc, s[2:3], v[2:3]
	s_mov_b64 s[24:25], 0
	s_cbranch_vccnz .LBB0_12
; %bb.11:
	v_cvt_f32_u32_e32 v1, s18
	s_sub_i32 s0, 0, s18
	v_rcp_iflag_f32_e32 v1, v1
	s_nop 0
	v_mul_f32_e32 v1, 0x4f7ffffe, v1
	v_cvt_u32_f32_e32 v1, v1
	s_nop 0
	v_readfirstlane_b32 s1, v1
	s_mul_i32 s0, s0, s1
	s_mul_hi_u32 s0, s1, s0
	s_add_i32 s1, s1, s0
	s_mul_hi_u32 s0, s2, s1
	s_mul_i32 s3, s0, s18
	s_sub_i32 s2, s2, s3
	s_add_i32 s1, s0, 1
	s_sub_i32 s3, s2, s18
	s_cmp_ge_u32 s2, s18
	s_cselect_b32 s0, s1, s0
	s_cselect_b32 s2, s3, s2
	s_add_i32 s1, s0, 1
	s_cmp_ge_u32 s2, s18
	s_cselect_b32 s24, s1, s0
.LBB0_12:
	s_lshl_b64 s[0:1], s[22:23], 3
	s_add_u32 s0, s10, s0
	s_addc_u32 s1, s11, s1
	s_load_dwordx2 s[0:1], s[0:1], 0x0
	v_mul_u32_u24_e32 v1, 0x199a, v0
	v_lshrrev_b32_e32 v1, 16, v1
	v_mul_lo_u16_e32 v2, 10, v1
	v_sub_u16_e32 v38, v0, v2
	s_waitcnt lgkmcnt(0)
	s_mul_i32 s1, s1, s24
	s_mul_hi_u32 s2, s0, s24
	s_mul_i32 s0, s0, s24
	s_add_i32 s1, s2, s1
	s_add_u32 s2, s0, s38
	s_addc_u32 s3, s1, s33
	s_mov_b32 s0, 0
	v_mov_b32_e32 v39, s0
	s_add_u32 s0, s20, 10
	s_addc_u32 s1, s21, 0
	v_mov_b64_e32 v[2:3], s[16:17]
	v_cmp_le_u64_e32 vcc, s[0:1], v[2:3]
	v_mad_u64_u32 v[36:37], s[0:1], s6, v38, 0
	v_mov_b32_e32 v2, v37
	v_mad_u64_u32 v[2:3], s[0:1], s7, v38, v[2:3]
	v_mov_b32_e32 v37, v2
	v_lshl_add_u64 v[2:3], s[20:21], 0, v[38:39]
	v_cmp_gt_u64_e64 s[0:1], s[16:17], v[2:3]
	v_mov_b64_e32 v[22:23], 0
	s_or_b64 s[0:1], vcc, s[0:1]
	v_mov_b64_e32 v[4:5], v[22:23]
	v_mov_b64_e32 v[2:3], v[22:23]
	s_and_saveexec_b64 s[6:7], s[0:1]
	s_cbranch_execz .LBB0_14
; %bb.13:
	v_mul_lo_u32 v2, s4, v1
	v_add3_u32 v2, s2, v36, v2
	v_mov_b32_e32 v3, 0
	v_lshl_add_u64 v[2:3], v[2:3], 4, s[12:13]
	global_load_dwordx4 v[2:5], v[2:3], off
.LBB0_14:
	s_or_b64 exec, exec, s[6:7]
	v_mov_b64_e32 v[20:21], v[22:23]
	s_and_saveexec_b64 s[6:7], s[0:1]
	s_cbranch_execz .LBB0_16
; %bb.15:
	v_add_u32_e32 v6, 40, v1
	v_mul_lo_u32 v6, s4, v6
	v_add3_u32 v6, s2, v36, v6
	v_mov_b32_e32 v7, 0
	v_lshl_add_u64 v[6:7], v[6:7], 4, s[12:13]
	global_load_dwordx4 v[20:23], v[6:7], off
.LBB0_16:
	s_or_b64 exec, exec, s[6:7]
	v_mov_b64_e32 v[26:27], 0
	v_mov_b64_e32 v[30:31], v[26:27]
	;; [unrolled: 1-line block ×3, first 2 shown]
	s_and_saveexec_b64 s[6:7], s[0:1]
	s_cbranch_execz .LBB0_18
; %bb.17:
	v_add_u32_e32 v6, 0x50, v1
	v_mul_lo_u32 v6, s4, v6
	v_add3_u32 v6, s2, v36, v6
	v_mov_b32_e32 v7, 0
	v_lshl_add_u64 v[6:7], v[6:7], 4, s[12:13]
	global_load_dwordx4 v[28:31], v[6:7], off
.LBB0_18:
	s_or_b64 exec, exec, s[6:7]
	v_mov_b64_e32 v[24:25], v[26:27]
	s_and_saveexec_b64 s[6:7], s[0:1]
	s_cbranch_execz .LBB0_20
; %bb.19:
	v_add_u32_e32 v6, 0x78, v1
	v_mul_lo_u32 v6, s4, v6
	v_add3_u32 v6, s2, v36, v6
	v_mov_b32_e32 v7, 0
	v_lshl_add_u64 v[6:7], v[6:7], 4, s[12:13]
	global_load_dwordx4 v[24:27], v[6:7], off
.LBB0_20:
	s_or_b64 exec, exec, s[6:7]
	v_mov_b64_e32 v[34:35], 0
	v_mov_b64_e32 v[32:33], v[34:35]
	s_and_saveexec_b64 s[6:7], s[0:1]
	s_cbranch_execz .LBB0_22
; %bb.21:
	v_add_u32_e32 v6, 0xa0, v1
	v_mul_lo_u32 v6, s4, v6
	v_add3_u32 v6, s2, v36, v6
	v_mov_b32_e32 v7, 0
	v_lshl_add_u64 v[6:7], v[6:7], 4, s[12:13]
	global_load_dwordx4 v[32:35], v[6:7], off
.LBB0_22:
	s_or_b64 exec, exec, s[6:7]
	s_waitcnt vmcnt(0)
	v_add_f64 v[8:9], v[28:29], v[24:25]
	s_mov_b32 s6, 0x134454ff
	v_fma_f64 v[10:11], -0.5, v[8:9], v[2:3]
	v_add_f64 v[8:9], v[22:23], -v[34:35]
	s_mov_b32 s7, 0xbfee6f0e
	s_mov_b32 s8, 0x4755a5e
	;; [unrolled: 1-line block ×4, first 2 shown]
	v_fma_f64 v[18:19], s[6:7], v[8:9], v[10:11]
	v_add_f64 v[12:13], v[30:31], -v[26:27]
	s_mov_b32 s9, 0xbfe2cf23
	v_add_f64 v[14:15], v[20:21], -v[28:29]
	v_add_f64 v[16:17], v[32:33], -v[24:25]
	s_mov_b32 s10, 0x372fe950
	v_fmac_f64_e32 v[10:11], s[16:17], v[8:9]
	s_mov_b32 s19, 0x3fe2cf23
	s_mov_b32 s18, s8
	v_fmac_f64_e32 v[18:19], s[8:9], v[12:13]
	v_add_f64 v[14:15], v[14:15], v[16:17]
	s_mov_b32 s11, 0x3fd3c6ef
	v_fmac_f64_e32 v[10:11], s[18:19], v[12:13]
	v_add_f64 v[6:7], v[2:3], v[20:21]
	v_fmac_f64_e32 v[18:19], s[10:11], v[14:15]
	v_fmac_f64_e32 v[10:11], s[10:11], v[14:15]
	v_add_f64 v[14:15], v[20:21], v[32:33]
	v_add_f64 v[6:7], v[6:7], v[28:29]
	v_fmac_f64_e32 v[2:3], -0.5, v[14:15]
	v_add_f64 v[6:7], v[6:7], v[24:25]
	v_fma_f64 v[14:15], s[16:17], v[12:13], v[2:3]
	v_add_f64 v[16:17], v[28:29], -v[20:21]
	v_add_f64 v[40:41], v[24:25], -v[32:33]
	v_fmac_f64_e32 v[2:3], s[6:7], v[12:13]
	v_add_f64 v[12:13], v[30:31], v[26:27]
	v_add_f64 v[6:7], v[6:7], v[32:33]
	v_fmac_f64_e32 v[14:15], s[8:9], v[8:9]
	v_add_f64 v[16:17], v[16:17], v[40:41]
	v_fmac_f64_e32 v[2:3], s[18:19], v[8:9]
	v_fma_f64 v[12:13], -0.5, v[12:13], v[4:5]
	v_add_f64 v[32:33], v[20:21], -v[32:33]
	v_fmac_f64_e32 v[14:15], s[10:11], v[16:17]
	v_fmac_f64_e32 v[2:3], s[10:11], v[16:17]
	v_fma_f64 v[20:21], s[16:17], v[32:33], v[12:13]
	v_add_f64 v[24:25], v[28:29], -v[24:25]
	v_add_f64 v[16:17], v[22:23], -v[30:31]
	;; [unrolled: 1-line block ×3, first 2 shown]
	v_fmac_f64_e32 v[12:13], s[6:7], v[32:33]
	v_fmac_f64_e32 v[20:21], s[18:19], v[24:25]
	v_add_f64 v[16:17], v[16:17], v[28:29]
	v_fmac_f64_e32 v[12:13], s[8:9], v[24:25]
	v_add_f64 v[8:9], v[4:5], v[22:23]
	v_fmac_f64_e32 v[20:21], s[10:11], v[16:17]
	v_fmac_f64_e32 v[12:13], s[10:11], v[16:17]
	v_add_f64 v[16:17], v[22:23], v[34:35]
	v_add_f64 v[8:9], v[8:9], v[30:31]
	v_fmac_f64_e32 v[4:5], -0.5, v[16:17]
	v_add_f64 v[8:9], v[8:9], v[26:27]
	v_fma_f64 v[16:17], s[6:7], v[24:25], v[4:5]
	v_add_f64 v[22:23], v[30:31], -v[22:23]
	v_add_f64 v[26:27], v[26:27], -v[34:35]
	v_fmac_f64_e32 v[4:5], s[16:17], v[24:25]
	v_fmac_f64_e32 v[16:17], s[18:19], v[32:33]
	v_add_f64 v[22:23], v[22:23], v[26:27]
	v_fmac_f64_e32 v[4:5], s[8:9], v[32:33]
	s_movk_i32 s6, 0x320
	v_fmac_f64_e32 v[16:17], s[10:11], v[22:23]
	v_fmac_f64_e32 v[4:5], s[10:11], v[22:23]
	v_mad_u32_u24 v22, v1, s6, 0
	s_movk_i32 s6, 0xfa
	v_add_f64 v[8:9], v[8:9], v[34:35]
	v_lshl_add_u32 v23, v38, 4, v22
	v_cmp_gt_u32_e32 vcc, s6, v0
	v_lshlrev_b32_e32 v34, 4, v38
	ds_write_b128 v23, v[6:9]
	ds_write_b128 v23, v[18:21] offset:160
	ds_write_b128 v23, v[14:17] offset:320
	;; [unrolled: 1-line block ×4, first 2 shown]
	s_waitcnt lgkmcnt(0)
	s_barrier
	s_waitcnt lgkmcnt(0)
                                        ; implicit-def: $vgpr24_vgpr25
                                        ; implicit-def: $vgpr28_vgpr29
                                        ; implicit-def: $vgpr32_vgpr33
	s_and_saveexec_b64 s[6:7], vcc
	s_cbranch_execz .LBB0_24
; %bb.23:
	v_mul_i32_i24_e32 v2, 0xfffffd80, v1
	v_add3_u32 v26, v22, v2, v34
	ds_read_b128 v[6:9], v26
	ds_read_b128 v[18:21], v26 offset:4000
	ds_read_b128 v[14:17], v26 offset:8000
	;; [unrolled: 1-line block ×7, first 2 shown]
.LBB0_24:
	s_or_b64 exec, exec, s[6:7]
	s_waitcnt lgkmcnt(0)
	s_barrier
	s_and_saveexec_b64 s[6:7], vcc
	s_cbranch_execz .LBB0_26
; %bb.25:
	v_mul_lo_u16_e32 v35, 52, v1
	v_mov_b32_e32 v38, 5
	v_mul_lo_u16_sdwa v38, v35, v38 dst_sel:DWORD dst_unused:UNUSED_PAD src0_sel:BYTE_1 src1_sel:DWORD
	v_sub_u16_e32 v68, v1, v38
	v_mov_b32_e32 v38, 7
	v_mul_u32_u24_sdwa v38, v68, v38 dst_sel:DWORD dst_unused:UNUSED_PAD src0_sel:BYTE_0 src1_sel:DWORD
	v_lshlrev_b32_e32 v66, 4, v38
	global_load_dwordx4 v[38:41], v66, s[14:15]
	global_load_dwordx4 v[42:45], v66, s[14:15] offset:48
	global_load_dwordx4 v[46:49], v66, s[14:15] offset:16
	;; [unrolled: 1-line block ×6, first 2 shown]
	s_mov_b32 s8, 0x667f3bcd
	s_mov_b32 s9, 0x3fe6a09e
	;; [unrolled: 1-line block ×4, first 2 shown]
	s_waitcnt vmcnt(6)
	v_mul_f64 v[66:67], v[18:19], v[40:41]
	v_mul_f64 v[40:41], v[20:21], v[40:41]
	v_fma_f64 v[20:21], v[20:21], v[38:39], -v[66:67]
	s_waitcnt vmcnt(3)
	v_mul_f64 v[66:67], v[30:31], v[52:53]
	v_mul_f64 v[52:53], v[32:33], v[52:53]
	v_fma_f64 v[32:33], v[32:33], v[50:51], -v[66:67]
	v_fmac_f64_e32 v[52:53], v[30:31], v[50:51]
	s_waitcnt vmcnt(1)
	v_mul_f64 v[50:51], v[4:5], v[60:61]
	v_mul_f64 v[60:61], v[2:3], v[60:61]
	v_fmac_f64_e32 v[40:41], v[18:19], v[38:39]
	v_mul_f64 v[18:19], v[10:11], v[44:45]
	v_mul_f64 v[38:39], v[16:17], v[48:49]
	;; [unrolled: 1-line block ×3, first 2 shown]
	s_waitcnt vmcnt(0)
	v_mul_f64 v[66:67], v[28:29], v[64:65]
	v_fmac_f64_e32 v[50:51], v[2:3], v[58:59]
	v_fma_f64 v[2:3], v[4:5], v[58:59], -v[60:61]
	v_mul_f64 v[4:5], v[26:27], v[64:65]
	v_mul_f64 v[48:49], v[14:15], v[48:49]
	;; [unrolled: 1-line block ×4, first 2 shown]
	v_fma_f64 v[12:13], v[12:13], v[42:43], -v[18:19]
	v_fmac_f64_e32 v[38:39], v[14:15], v[46:47]
	v_fmac_f64_e32 v[30:31], v[22:23], v[54:55]
	;; [unrolled: 1-line block ×3, first 2 shown]
	v_fma_f64 v[4:5], v[28:29], v[62:63], -v[4:5]
	v_fma_f64 v[14:15], v[16:17], v[46:47], -v[48:49]
	;; [unrolled: 1-line block ×3, first 2 shown]
	v_fmac_f64_e32 v[44:45], v[10:11], v[42:43]
	v_add_f64 v[10:11], v[8:9], -v[12:13]
	v_add_f64 v[12:13], v[38:39], -v[30:31]
	;; [unrolled: 1-line block ×10, first 2 shown]
	v_add_f64 v[32:33], v[24:25], v[4:5]
	v_add_f64 v[42:43], v[26:27], v[16:17]
	v_fma_f64 v[44:45], v[8:9], 2.0, -v[10:11]
	v_fma_f64 v[8:9], v[14:15], 2.0, -v[16:17]
	;; [unrolled: 1-line block ×8, first 2 shown]
	v_fma_f64 v[4:5], s[8:9], v[30:31], v[28:29]
	v_fma_f64 v[2:3], s[8:9], v[32:33], v[42:43]
	v_add_f64 v[20:21], v[44:45], -v[8:9]
	v_add_f64 v[38:39], v[40:41], -v[14:15]
	;; [unrolled: 1-line block ×3, first 2 shown]
	v_fma_f64 v[48:49], v[10:11], 2.0, -v[28:29]
	v_fma_f64 v[50:51], v[18:19], 2.0, -v[30:31]
	;; [unrolled: 1-line block ×4, first 2 shown]
	v_fmac_f64_e32 v[4:5], s[10:11], v[32:33]
	v_fmac_f64_e32 v[2:3], s[8:9], v[30:31]
	v_fma_f64 v[12:13], s[10:11], v[50:51], v[48:49]
	v_fma_f64 v[30:31], v[44:45], 2.0, -v[20:21]
	v_fma_f64 v[32:33], v[16:17], 2.0, -v[14:15]
	v_add_f64 v[46:47], v[22:23], -v[6:7]
	v_fma_f64 v[10:11], s[10:11], v[24:25], v[26:27]
	v_fmac_f64_e32 v[12:13], s[10:11], v[24:25]
	v_add_f64 v[24:25], v[30:31], -v[32:33]
	v_add_f64 v[8:9], v[20:21], -v[38:39]
	v_fma_f64 v[32:33], v[30:31], 2.0, -v[24:25]
	v_fma_f64 v[30:31], v[22:23], 2.0, -v[46:47]
	;; [unrolled: 1-line block ×3, first 2 shown]
	v_mov_b32_e32 v38, 40
	v_mul_u32_u24_sdwa v35, v35, v38 dst_sel:DWORD dst_unused:UNUSED_PAD src0_sel:BYTE_1 src1_sel:DWORD
	v_or_b32_sdwa v35, v35, v68 dst_sel:DWORD dst_unused:UNUSED_PAD src0_sel:DWORD src1_sel:BYTE_0
	v_add_f64 v[22:23], v[30:31], -v[22:23]
	v_mul_u32_u24_e32 v35, 0xa0, v35
	v_add_f64 v[6:7], v[46:47], v[14:15]
	v_fmac_f64_e32 v[10:11], s[8:9], v[50:51]
	v_fma_f64 v[30:31], v[30:31], 2.0, -v[22:23]
	v_add3_u32 v35, 0, v35, v34
	v_fma_f64 v[16:17], v[28:29], 2.0, -v[4:5]
	v_fma_f64 v[14:15], v[42:43], 2.0, -v[2:3]
	;; [unrolled: 1-line block ×6, first 2 shown]
	ds_write_b128 v35, v[30:33]
	ds_write_b128 v35, v[26:29] offset:800
	ds_write_b128 v35, v[18:21] offset:1600
	;; [unrolled: 1-line block ×7, first 2 shown]
.LBB0_26:
	s_or_b64 exec, exec, s[6:7]
	s_waitcnt lgkmcnt(0)
	s_barrier
	s_and_saveexec_b64 s[6:7], s[0:1]
	s_cbranch_execz .LBB0_28
; %bb.27:
	v_mul_lo_u16_e32 v2, 13, v1
	v_lshrrev_b16_e32 v2, 9, v2
	v_mul_lo_u16_e32 v2, 40, v2
	v_sub_u16_e32 v62, v1, v2
	v_mov_b32_e32 v2, 6
	v_lshlrev_b32_sdwa v18, v2, v62 dst_sel:DWORD dst_unused:UNUSED_PAD src0_sel:DWORD src1_sel:BYTE_0
	global_load_dwordx4 v[2:5], v18, s[14:15] offset:576
	global_load_dwordx4 v[6:9], v18, s[14:15] offset:560
	;; [unrolled: 1-line block ×4, first 2 shown]
	v_mul_u32_u24_e32 v1, 0xa0, v1
	v_add3_u32 v1, 0, v1, v34
	ds_read_b128 v[18:21], v1 offset:12800
	ds_read_b128 v[22:25], v1 offset:6400
	;; [unrolled: 1-line block ×4, first 2 shown]
	ds_read_b128 v[38:41], v1
	s_mov_b32 s8, 0x134454ff
	s_mov_b32 s9, 0x3fee6f0e
	;; [unrolled: 1-line block ×10, first 2 shown]
	s_waitcnt vmcnt(3) lgkmcnt(4)
	v_mul_f64 v[34:35], v[18:19], v[4:5]
	s_waitcnt vmcnt(2) lgkmcnt(3)
	v_mul_f64 v[42:43], v[22:23], v[8:9]
	s_waitcnt vmcnt(1) lgkmcnt(2)
	v_mul_f64 v[44:45], v[26:27], v[12:13]
	s_waitcnt vmcnt(0) lgkmcnt(1)
	v_mul_f64 v[46:47], v[30:31], v[16:17]
	v_mul_f64 v[48:49], v[20:21], v[4:5]
	v_mul_f64 v[50:51], v[28:29], v[12:13]
	;; [unrolled: 1-line block ×4, first 2 shown]
	v_fma_f64 v[12:13], v[20:21], v[2:3], -v[34:35]
	v_fma_f64 v[4:5], v[24:25], v[6:7], -v[42:43]
	;; [unrolled: 1-line block ×4, first 2 shown]
	v_fmac_f64_e32 v[48:49], v[18:19], v[2:3]
	v_fmac_f64_e32 v[50:51], v[26:27], v[10:11]
	v_fmac_f64_e32 v[52:53], v[22:23], v[6:7]
	v_fmac_f64_e32 v[54:55], v[30:31], v[14:15]
	v_add_f64 v[2:3], v[12:13], -v[4:5]
	v_add_f64 v[6:7], v[20:21], -v[24:25]
	v_add_f64 v[8:9], v[4:5], v[24:25]
	v_add_f64 v[10:11], v[4:5], -v[12:13]
	v_add_f64 v[14:15], v[24:25], -v[20:21]
	v_add_f64 v[16:17], v[12:13], v[20:21]
	s_waitcnt lgkmcnt(0)
	v_add_f64 v[26:27], v[40:41], v[4:5]
	v_add_f64 v[34:35], v[52:53], v[54:55]
	;; [unrolled: 1-line block ×3, first 2 shown]
	v_add_f64 v[18:19], v[48:49], -v[50:51]
	v_add_f64 v[22:23], v[52:53], -v[54:55]
	;; [unrolled: 1-line block ×4, first 2 shown]
	v_add_f64 v[58:59], v[2:3], v[6:7]
	v_fma_f64 v[4:5], -0.5, v[8:9], v[40:41]
	v_add_f64 v[60:61], v[10:11], v[14:15]
	v_fma_f64 v[8:9], -0.5, v[16:17], v[40:41]
	;; [unrolled: 2-line block ×3, first 2 shown]
	v_fma_f64 v[6:7], -0.5, v[56:57], v[38:39]
	v_fma_f64 v[12:13], s[8:9], v[18:19], v[4:5]
	v_fma_f64 v[16:17], s[10:11], v[22:23], v[8:9]
	v_add_f64 v[20:21], v[10:11], v[20:21]
	v_fma_f64 v[10:11], s[10:11], v[42:43], v[2:3]
	v_fmac_f64_e32 v[2:3], s[8:9], v[42:43]
	v_fma_f64 v[14:15], s[8:9], v[32:33], v[6:7]
	v_fmac_f64_e32 v[6:7], s[10:11], v[32:33]
	v_fmac_f64_e32 v[12:13], s[0:1], v[22:23]
	v_fmac_f64_e32 v[16:17], s[0:1], v[18:19]
	v_fmac_f64_e32 v[2:3], s[0:1], v[32:33]
	v_fmac_f64_e32 v[6:7], s[0:1], v[42:43]
	s_movk_i32 s0, 0xa4
	v_mul_u32_u24_sdwa v0, v0, s0 dst_sel:DWORD dst_unused:UNUSED_PAD src0_sel:WORD_0 src1_sel:DWORD
	s_movk_i32 s0, 0xc8
	v_mul_lo_u16_sdwa v0, v0, s0 dst_sel:DWORD dst_unused:UNUSED_PAD src0_sel:WORD_1 src1_sel:DWORD
	v_add_f64 v[20:21], v[20:21], v[24:25]
	v_add_u32_sdwa v24, v62, v0 dst_sel:DWORD dst_unused:UNUSED_PAD src0_sel:BYTE_0 src1_sel:DWORD
	v_fmac_f64_e32 v[4:5], s[10:11], v[18:19]
	v_mad_u64_u32 v[0:1], s[0:1], s4, v24, 0
	v_fmac_f64_e32 v[8:9], s[8:9], v[22:23]
	v_fmac_f64_e32 v[4:5], s[14:15], v[22:23]
	v_mov_b32_e32 v22, v1
	v_mad_u64_u32 v[22:23], s[0:1], s5, v24, v[22:23]
	s_lshl_b64 s[0:1], s[2:3], 4
	v_fmac_f64_e32 v[8:9], s[14:15], v[18:19]
	v_add_f64 v[18:19], v[38:39], v[52:53]
	s_add_u32 s0, s12, s0
	v_add_f64 v[18:19], v[18:19], v[48:49]
	s_addc_u32 s1, s13, s1
	v_add_f64 v[18:19], v[18:19], v[50:51]
	v_mov_b32_e32 v1, v22
	v_lshl_add_u64 v[22:23], v[36:37], 4, s[0:1]
	v_add_f64 v[18:19], v[18:19], v[54:55]
	v_lshl_add_u64 v[0:1], v[0:1], 4, v[22:23]
	global_store_dwordx4 v[0:1], v[18:21], off
	v_add_f64 v[28:29], v[48:49], -v[52:53]
	v_add_f64 v[30:31], v[50:51], -v[54:55]
	v_add_u32_e32 v19, 40, v24
	v_mad_u64_u32 v[0:1], s[0:1], s4, v19, 0
	v_mov_b32_e32 v18, v1
	v_add_f64 v[44:45], v[52:53], -v[48:49]
	v_add_f64 v[46:47], v[54:55], -v[50:51]
	v_mad_u64_u32 v[18:19], s[0:1], s5, v19, v[18:19]
	v_add_f64 v[26:27], v[28:29], v[30:31]
	v_add_f64 v[28:29], v[44:45], v[46:47]
	v_mov_b32_e32 v1, v18
	v_fmac_f64_e32 v[8:9], s[6:7], v[60:61]
	v_fmac_f64_e32 v[6:7], s[6:7], v[28:29]
	v_lshl_add_u64 v[0:1], v[0:1], 4, v[22:23]
	global_store_dwordx4 v[0:1], v[6:9], off
	v_fmac_f64_e32 v[4:5], s[6:7], v[58:59]
	v_fmac_f64_e32 v[2:3], s[6:7], v[26:27]
	v_add_u32_e32 v7, 0x50, v24
	v_mad_u64_u32 v[0:1], s[0:1], s4, v7, 0
	v_mov_b32_e32 v6, v1
	v_mad_u64_u32 v[6:7], s[0:1], s5, v7, v[6:7]
	v_mov_b32_e32 v1, v6
	v_lshl_add_u64 v[0:1], v[0:1], 4, v[22:23]
	global_store_dwordx4 v[0:1], v[2:5], off
	v_fmac_f64_e32 v[10:11], s[14:15], v[32:33]
	v_fmac_f64_e32 v[12:13], s[6:7], v[58:59]
	v_add_u32_e32 v3, 0x78, v24
	v_mad_u64_u32 v[0:1], s[0:1], s4, v3, 0
	v_mov_b32_e32 v2, v1
	v_mad_u64_u32 v[2:3], s[0:1], s5, v3, v[2:3]
	v_mov_b32_e32 v1, v2
	v_fmac_f64_e32 v[10:11], s[6:7], v[26:27]
	v_lshl_add_u64 v[0:1], v[0:1], 4, v[22:23]
	v_add_u32_e32 v3, 0xa0, v24
	global_store_dwordx4 v[0:1], v[10:13], off
	v_mad_u64_u32 v[0:1], s[0:1], s4, v3, 0
	v_mov_b32_e32 v2, v1
	v_mad_u64_u32 v[2:3], s[0:1], s5, v3, v[2:3]
	v_fmac_f64_e32 v[14:15], s[14:15], v[42:43]
	v_mov_b32_e32 v1, v2
	v_fmac_f64_e32 v[16:17], s[6:7], v[60:61]
	v_fmac_f64_e32 v[14:15], s[6:7], v[28:29]
	v_lshl_add_u64 v[0:1], v[0:1], 4, v[22:23]
	global_store_dwordx4 v[0:1], v[14:17], off
.LBB0_28:
	s_endpgm
	.section	.rodata,"a",@progbits
	.p2align	6, 0x0
	.amdhsa_kernel fft_rtc_back_len200_factors_5_8_5_wgs_400_tpt_40_dp_ip_CI_sbcc_dirReg_intrinsicRead
		.amdhsa_group_segment_fixed_size 0
		.amdhsa_private_segment_fixed_size 0
		.amdhsa_kernarg_size 96
		.amdhsa_user_sgpr_count 2
		.amdhsa_user_sgpr_dispatch_ptr 0
		.amdhsa_user_sgpr_queue_ptr 0
		.amdhsa_user_sgpr_kernarg_segment_ptr 1
		.amdhsa_user_sgpr_dispatch_id 0
		.amdhsa_user_sgpr_kernarg_preload_length 0
		.amdhsa_user_sgpr_kernarg_preload_offset 0
		.amdhsa_user_sgpr_private_segment_size 0
		.amdhsa_uses_dynamic_stack 0
		.amdhsa_enable_private_segment 0
		.amdhsa_system_sgpr_workgroup_id_x 1
		.amdhsa_system_sgpr_workgroup_id_y 0
		.amdhsa_system_sgpr_workgroup_id_z 0
		.amdhsa_system_sgpr_workgroup_info 0
		.amdhsa_system_vgpr_workitem_id 0
		.amdhsa_next_free_vgpr 69
		.amdhsa_next_free_sgpr 43
		.amdhsa_accum_offset 72
		.amdhsa_reserve_vcc 1
		.amdhsa_float_round_mode_32 0
		.amdhsa_float_round_mode_16_64 0
		.amdhsa_float_denorm_mode_32 3
		.amdhsa_float_denorm_mode_16_64 3
		.amdhsa_dx10_clamp 1
		.amdhsa_ieee_mode 1
		.amdhsa_fp16_overflow 0
		.amdhsa_tg_split 0
		.amdhsa_exception_fp_ieee_invalid_op 0
		.amdhsa_exception_fp_denorm_src 0
		.amdhsa_exception_fp_ieee_div_zero 0
		.amdhsa_exception_fp_ieee_overflow 0
		.amdhsa_exception_fp_ieee_underflow 0
		.amdhsa_exception_fp_ieee_inexact 0
		.amdhsa_exception_int_div_zero 0
	.end_amdhsa_kernel
	.text
.Lfunc_end0:
	.size	fft_rtc_back_len200_factors_5_8_5_wgs_400_tpt_40_dp_ip_CI_sbcc_dirReg_intrinsicRead, .Lfunc_end0-fft_rtc_back_len200_factors_5_8_5_wgs_400_tpt_40_dp_ip_CI_sbcc_dirReg_intrinsicRead
                                        ; -- End function
	.section	.AMDGPU.csdata,"",@progbits
; Kernel info:
; codeLenInByte = 4364
; NumSgprs: 49
; NumVgprs: 69
; NumAgprs: 0
; TotalNumVgprs: 69
; ScratchSize: 0
; MemoryBound: 0
; FloatMode: 240
; IeeeMode: 1
; LDSByteSize: 0 bytes/workgroup (compile time only)
; SGPRBlocks: 6
; VGPRBlocks: 8
; NumSGPRsForWavesPerEU: 49
; NumVGPRsForWavesPerEU: 69
; AccumOffset: 72
; Occupancy: 7
; WaveLimiterHint : 1
; COMPUTE_PGM_RSRC2:SCRATCH_EN: 0
; COMPUTE_PGM_RSRC2:USER_SGPR: 2
; COMPUTE_PGM_RSRC2:TRAP_HANDLER: 0
; COMPUTE_PGM_RSRC2:TGID_X_EN: 1
; COMPUTE_PGM_RSRC2:TGID_Y_EN: 0
; COMPUTE_PGM_RSRC2:TGID_Z_EN: 0
; COMPUTE_PGM_RSRC2:TIDIG_COMP_CNT: 0
; COMPUTE_PGM_RSRC3_GFX90A:ACCUM_OFFSET: 17
; COMPUTE_PGM_RSRC3_GFX90A:TG_SPLIT: 0
	.text
	.p2alignl 6, 3212836864
	.fill 256, 4, 3212836864
	.type	__hip_cuid_1ff4ad49b9b9e72f,@object ; @__hip_cuid_1ff4ad49b9b9e72f
	.section	.bss,"aw",@nobits
	.globl	__hip_cuid_1ff4ad49b9b9e72f
__hip_cuid_1ff4ad49b9b9e72f:
	.byte	0                               ; 0x0
	.size	__hip_cuid_1ff4ad49b9b9e72f, 1

	.ident	"AMD clang version 19.0.0git (https://github.com/RadeonOpenCompute/llvm-project roc-6.4.0 25133 c7fe45cf4b819c5991fe208aaa96edf142730f1d)"
	.section	".note.GNU-stack","",@progbits
	.addrsig
	.addrsig_sym __hip_cuid_1ff4ad49b9b9e72f
	.amdgpu_metadata
---
amdhsa.kernels:
  - .agpr_count:     0
    .args:
      - .actual_access:  read_only
        .address_space:  global
        .offset:         0
        .size:           8
        .value_kind:     global_buffer
      - .address_space:  global
        .offset:         8
        .size:           8
        .value_kind:     global_buffer
      - .offset:         16
        .size:           8
        .value_kind:     by_value
      - .actual_access:  read_only
        .address_space:  global
        .offset:         24
        .size:           8
        .value_kind:     global_buffer
      - .actual_access:  read_only
        .address_space:  global
        .offset:         32
        .size:           8
        .value_kind:     global_buffer
      - .offset:         40
        .size:           8
        .value_kind:     by_value
      - .actual_access:  read_only
        .address_space:  global
        .offset:         48
        .size:           8
        .value_kind:     global_buffer
      - .actual_access:  read_only
        .address_space:  global
        .offset:         56
        .size:           8
        .value_kind:     global_buffer
      - .offset:         64
        .size:           4
        .value_kind:     by_value
      - .actual_access:  read_only
        .address_space:  global
        .offset:         72
        .size:           8
        .value_kind:     global_buffer
      - .actual_access:  read_only
        .address_space:  global
        .offset:         80
        .size:           8
        .value_kind:     global_buffer
      - .address_space:  global
        .offset:         88
        .size:           8
        .value_kind:     global_buffer
    .group_segment_fixed_size: 0
    .kernarg_segment_align: 8
    .kernarg_segment_size: 96
    .language:       OpenCL C
    .language_version:
      - 2
      - 0
    .max_flat_workgroup_size: 400
    .name:           fft_rtc_back_len200_factors_5_8_5_wgs_400_tpt_40_dp_ip_CI_sbcc_dirReg_intrinsicRead
    .private_segment_fixed_size: 0
    .sgpr_count:     49
    .sgpr_spill_count: 0
    .symbol:         fft_rtc_back_len200_factors_5_8_5_wgs_400_tpt_40_dp_ip_CI_sbcc_dirReg_intrinsicRead.kd
    .uniform_work_group_size: 1
    .uses_dynamic_stack: false
    .vgpr_count:     69
    .vgpr_spill_count: 0
    .wavefront_size: 64
amdhsa.target:   amdgcn-amd-amdhsa--gfx950
amdhsa.version:
  - 1
  - 2
...

	.end_amdgpu_metadata
